;; amdgpu-corpus repo=ROCm/rocFFT kind=compiled arch=gfx1201 opt=O3
	.text
	.amdgcn_target "amdgcn-amd-amdhsa--gfx1201"
	.amdhsa_code_object_version 6
	.protected	fft_rtc_back_len1152_factors_4_3_8_3_4_wgs_144_tpt_144_halfLds_dp_ip_CI_unitstride_sbrr_R2C_dirReg ; -- Begin function fft_rtc_back_len1152_factors_4_3_8_3_4_wgs_144_tpt_144_halfLds_dp_ip_CI_unitstride_sbrr_R2C_dirReg
	.globl	fft_rtc_back_len1152_factors_4_3_8_3_4_wgs_144_tpt_144_halfLds_dp_ip_CI_unitstride_sbrr_R2C_dirReg
	.p2align	8
	.type	fft_rtc_back_len1152_factors_4_3_8_3_4_wgs_144_tpt_144_halfLds_dp_ip_CI_unitstride_sbrr_R2C_dirReg,@function
fft_rtc_back_len1152_factors_4_3_8_3_4_wgs_144_tpt_144_halfLds_dp_ip_CI_unitstride_sbrr_R2C_dirReg: ; @fft_rtc_back_len1152_factors_4_3_8_3_4_wgs_144_tpt_144_halfLds_dp_ip_CI_unitstride_sbrr_R2C_dirReg
; %bb.0:
	s_clause 0x2
	s_load_b128 s[4:7], s[0:1], 0x0
	s_load_b64 s[8:9], s[0:1], 0x50
	s_load_b64 s[10:11], s[0:1], 0x18
	v_mul_u32_u24_e32 v1, 0x1c8, v0
	v_mov_b32_e32 v3, 0
	s_delay_alu instid0(VALU_DEP_2) | instskip(NEXT) | instid1(VALU_DEP_1)
	v_lshrrev_b32_e32 v1, 16, v1
	v_add_nc_u32_e32 v5, ttmp9, v1
	v_mov_b32_e32 v1, 0
	v_mov_b32_e32 v2, 0
	;; [unrolled: 1-line block ×3, first 2 shown]
	s_wait_kmcnt 0x0
	v_cmp_lt_u64_e64 s2, s[6:7], 2
	s_delay_alu instid0(VALU_DEP_1)
	s_and_b32 vcc_lo, exec_lo, s2
	s_cbranch_vccnz .LBB0_8
; %bb.1:
	s_load_b64 s[2:3], s[0:1], 0x10
	v_mov_b32_e32 v1, 0
	v_mov_b32_e32 v2, 0
	s_add_nc_u64 s[12:13], s[10:11], 8
	s_mov_b64 s[14:15], 1
	s_wait_kmcnt 0x0
	s_add_nc_u64 s[16:17], s[2:3], 8
	s_mov_b32 s3, 0
.LBB0_2:                                ; =>This Inner Loop Header: Depth=1
	s_load_b64 s[18:19], s[16:17], 0x0
                                        ; implicit-def: $vgpr7_vgpr8
	s_mov_b32 s2, exec_lo
	s_wait_kmcnt 0x0
	v_or_b32_e32 v4, s19, v6
	s_delay_alu instid0(VALU_DEP_1)
	v_cmpx_ne_u64_e32 0, v[3:4]
	s_wait_alu 0xfffe
	s_xor_b32 s20, exec_lo, s2
	s_cbranch_execz .LBB0_4
; %bb.3:                                ;   in Loop: Header=BB0_2 Depth=1
	s_cvt_f32_u32 s2, s18
	s_cvt_f32_u32 s21, s19
	s_sub_nc_u64 s[24:25], 0, s[18:19]
	s_wait_alu 0xfffe
	s_delay_alu instid0(SALU_CYCLE_1) | instskip(SKIP_1) | instid1(SALU_CYCLE_2)
	s_fmamk_f32 s2, s21, 0x4f800000, s2
	s_wait_alu 0xfffe
	v_s_rcp_f32 s2, s2
	s_delay_alu instid0(TRANS32_DEP_1) | instskip(SKIP_1) | instid1(SALU_CYCLE_2)
	s_mul_f32 s2, s2, 0x5f7ffffc
	s_wait_alu 0xfffe
	s_mul_f32 s21, s2, 0x2f800000
	s_wait_alu 0xfffe
	s_delay_alu instid0(SALU_CYCLE_2) | instskip(SKIP_1) | instid1(SALU_CYCLE_2)
	s_trunc_f32 s21, s21
	s_wait_alu 0xfffe
	s_fmamk_f32 s2, s21, 0xcf800000, s2
	s_cvt_u32_f32 s23, s21
	s_wait_alu 0xfffe
	s_delay_alu instid0(SALU_CYCLE_1) | instskip(SKIP_1) | instid1(SALU_CYCLE_2)
	s_cvt_u32_f32 s22, s2
	s_wait_alu 0xfffe
	s_mul_u64 s[26:27], s[24:25], s[22:23]
	s_wait_alu 0xfffe
	s_mul_hi_u32 s29, s22, s27
	s_mul_i32 s28, s22, s27
	s_mul_hi_u32 s2, s22, s26
	s_mul_i32 s30, s23, s26
	s_wait_alu 0xfffe
	s_add_nc_u64 s[28:29], s[2:3], s[28:29]
	s_mul_hi_u32 s21, s23, s26
	s_mul_hi_u32 s31, s23, s27
	s_add_co_u32 s2, s28, s30
	s_wait_alu 0xfffe
	s_add_co_ci_u32 s2, s29, s21
	s_mul_i32 s26, s23, s27
	s_add_co_ci_u32 s27, s31, 0
	s_wait_alu 0xfffe
	s_add_nc_u64 s[26:27], s[2:3], s[26:27]
	s_wait_alu 0xfffe
	v_add_co_u32 v4, s2, s22, s26
	s_delay_alu instid0(VALU_DEP_1) | instskip(SKIP_1) | instid1(VALU_DEP_1)
	s_cmp_lg_u32 s2, 0
	s_add_co_ci_u32 s23, s23, s27
	v_readfirstlane_b32 s22, v4
	s_wait_alu 0xfffe
	s_delay_alu instid0(VALU_DEP_1)
	s_mul_u64 s[24:25], s[24:25], s[22:23]
	s_wait_alu 0xfffe
	s_mul_hi_u32 s27, s22, s25
	s_mul_i32 s26, s22, s25
	s_mul_hi_u32 s2, s22, s24
	s_mul_i32 s28, s23, s24
	s_wait_alu 0xfffe
	s_add_nc_u64 s[26:27], s[2:3], s[26:27]
	s_mul_hi_u32 s21, s23, s24
	s_mul_hi_u32 s22, s23, s25
	s_wait_alu 0xfffe
	s_add_co_u32 s2, s26, s28
	s_add_co_ci_u32 s2, s27, s21
	s_mul_i32 s24, s23, s25
	s_add_co_ci_u32 s25, s22, 0
	s_wait_alu 0xfffe
	s_add_nc_u64 s[24:25], s[2:3], s[24:25]
	s_wait_alu 0xfffe
	v_add_co_u32 v4, s2, v4, s24
	s_delay_alu instid0(VALU_DEP_1) | instskip(SKIP_1) | instid1(VALU_DEP_1)
	s_cmp_lg_u32 s2, 0
	s_add_co_ci_u32 s2, s23, s25
	v_mul_hi_u32 v13, v5, v4
	s_wait_alu 0xfffe
	v_mad_co_u64_u32 v[7:8], null, v5, s2, 0
	v_mad_co_u64_u32 v[9:10], null, v6, v4, 0
	;; [unrolled: 1-line block ×3, first 2 shown]
	s_delay_alu instid0(VALU_DEP_3) | instskip(SKIP_1) | instid1(VALU_DEP_4)
	v_add_co_u32 v4, vcc_lo, v13, v7
	s_wait_alu 0xfffd
	v_add_co_ci_u32_e32 v7, vcc_lo, 0, v8, vcc_lo
	s_delay_alu instid0(VALU_DEP_2) | instskip(SKIP_1) | instid1(VALU_DEP_2)
	v_add_co_u32 v4, vcc_lo, v4, v9
	s_wait_alu 0xfffd
	v_add_co_ci_u32_e32 v4, vcc_lo, v7, v10, vcc_lo
	s_wait_alu 0xfffd
	v_add_co_ci_u32_e32 v7, vcc_lo, 0, v12, vcc_lo
	s_delay_alu instid0(VALU_DEP_2) | instskip(SKIP_1) | instid1(VALU_DEP_2)
	v_add_co_u32 v4, vcc_lo, v4, v11
	s_wait_alu 0xfffd
	v_add_co_ci_u32_e32 v9, vcc_lo, 0, v7, vcc_lo
	s_delay_alu instid0(VALU_DEP_2) | instskip(SKIP_1) | instid1(VALU_DEP_3)
	v_mul_lo_u32 v10, s19, v4
	v_mad_co_u64_u32 v[7:8], null, s18, v4, 0
	v_mul_lo_u32 v11, s18, v9
	s_delay_alu instid0(VALU_DEP_2) | instskip(NEXT) | instid1(VALU_DEP_2)
	v_sub_co_u32 v7, vcc_lo, v5, v7
	v_add3_u32 v8, v8, v11, v10
	s_delay_alu instid0(VALU_DEP_1) | instskip(SKIP_1) | instid1(VALU_DEP_1)
	v_sub_nc_u32_e32 v10, v6, v8
	s_wait_alu 0xfffd
	v_subrev_co_ci_u32_e64 v10, s2, s19, v10, vcc_lo
	v_add_co_u32 v11, s2, v4, 2
	s_wait_alu 0xf1ff
	v_add_co_ci_u32_e64 v12, s2, 0, v9, s2
	v_sub_co_u32 v13, s2, v7, s18
	v_sub_co_ci_u32_e32 v8, vcc_lo, v6, v8, vcc_lo
	s_wait_alu 0xf1ff
	v_subrev_co_ci_u32_e64 v10, s2, 0, v10, s2
	s_delay_alu instid0(VALU_DEP_3) | instskip(NEXT) | instid1(VALU_DEP_3)
	v_cmp_le_u32_e32 vcc_lo, s18, v13
	v_cmp_eq_u32_e64 s2, s19, v8
	s_wait_alu 0xfffd
	v_cndmask_b32_e64 v13, 0, -1, vcc_lo
	v_cmp_le_u32_e32 vcc_lo, s19, v10
	s_wait_alu 0xfffd
	v_cndmask_b32_e64 v14, 0, -1, vcc_lo
	v_cmp_le_u32_e32 vcc_lo, s18, v7
	;; [unrolled: 3-line block ×3, first 2 shown]
	s_wait_alu 0xfffd
	v_cndmask_b32_e64 v15, 0, -1, vcc_lo
	v_cmp_eq_u32_e32 vcc_lo, s19, v10
	s_wait_alu 0xf1ff
	s_delay_alu instid0(VALU_DEP_2)
	v_cndmask_b32_e64 v7, v15, v7, s2
	s_wait_alu 0xfffd
	v_cndmask_b32_e32 v10, v14, v13, vcc_lo
	v_add_co_u32 v13, vcc_lo, v4, 1
	s_wait_alu 0xfffd
	v_add_co_ci_u32_e32 v14, vcc_lo, 0, v9, vcc_lo
	s_delay_alu instid0(VALU_DEP_3) | instskip(SKIP_2) | instid1(VALU_DEP_3)
	v_cmp_ne_u32_e32 vcc_lo, 0, v10
	s_wait_alu 0xfffd
	v_cndmask_b32_e32 v10, v13, v11, vcc_lo
	v_cndmask_b32_e32 v8, v14, v12, vcc_lo
	v_cmp_ne_u32_e32 vcc_lo, 0, v7
	s_wait_alu 0xfffd
	s_delay_alu instid0(VALU_DEP_2)
	v_dual_cndmask_b32 v7, v4, v10 :: v_dual_cndmask_b32 v8, v9, v8
.LBB0_4:                                ;   in Loop: Header=BB0_2 Depth=1
	s_wait_alu 0xfffe
	s_and_not1_saveexec_b32 s2, s20
	s_cbranch_execz .LBB0_6
; %bb.5:                                ;   in Loop: Header=BB0_2 Depth=1
	v_cvt_f32_u32_e32 v4, s18
	s_sub_co_i32 s20, 0, s18
	s_delay_alu instid0(VALU_DEP_1) | instskip(NEXT) | instid1(TRANS32_DEP_1)
	v_rcp_iflag_f32_e32 v4, v4
	v_mul_f32_e32 v4, 0x4f7ffffe, v4
	s_delay_alu instid0(VALU_DEP_1) | instskip(SKIP_1) | instid1(VALU_DEP_1)
	v_cvt_u32_f32_e32 v4, v4
	s_wait_alu 0xfffe
	v_mul_lo_u32 v7, s20, v4
	s_delay_alu instid0(VALU_DEP_1) | instskip(NEXT) | instid1(VALU_DEP_1)
	v_mul_hi_u32 v7, v4, v7
	v_add_nc_u32_e32 v4, v4, v7
	s_delay_alu instid0(VALU_DEP_1) | instskip(NEXT) | instid1(VALU_DEP_1)
	v_mul_hi_u32 v4, v5, v4
	v_mul_lo_u32 v7, v4, s18
	v_add_nc_u32_e32 v8, 1, v4
	s_delay_alu instid0(VALU_DEP_2) | instskip(NEXT) | instid1(VALU_DEP_1)
	v_sub_nc_u32_e32 v7, v5, v7
	v_subrev_nc_u32_e32 v9, s18, v7
	v_cmp_le_u32_e32 vcc_lo, s18, v7
	s_wait_alu 0xfffd
	s_delay_alu instid0(VALU_DEP_2) | instskip(NEXT) | instid1(VALU_DEP_1)
	v_dual_cndmask_b32 v7, v7, v9 :: v_dual_cndmask_b32 v4, v4, v8
	v_cmp_le_u32_e32 vcc_lo, s18, v7
	s_delay_alu instid0(VALU_DEP_2) | instskip(SKIP_1) | instid1(VALU_DEP_1)
	v_add_nc_u32_e32 v8, 1, v4
	s_wait_alu 0xfffd
	v_dual_cndmask_b32 v7, v4, v8 :: v_dual_mov_b32 v8, v3
.LBB0_6:                                ;   in Loop: Header=BB0_2 Depth=1
	s_wait_alu 0xfffe
	s_or_b32 exec_lo, exec_lo, s2
	s_load_b64 s[20:21], s[12:13], 0x0
	s_delay_alu instid0(VALU_DEP_1)
	v_mul_lo_u32 v4, v8, s18
	v_mul_lo_u32 v11, v7, s19
	v_mad_co_u64_u32 v[9:10], null, v7, s18, 0
	s_add_nc_u64 s[14:15], s[14:15], 1
	s_add_nc_u64 s[12:13], s[12:13], 8
	s_wait_alu 0xfffe
	v_cmp_ge_u64_e64 s2, s[14:15], s[6:7]
	s_add_nc_u64 s[16:17], s[16:17], 8
	s_delay_alu instid0(VALU_DEP_2) | instskip(NEXT) | instid1(VALU_DEP_3)
	v_add3_u32 v4, v10, v11, v4
	v_sub_co_u32 v5, vcc_lo, v5, v9
	s_wait_alu 0xfffd
	s_delay_alu instid0(VALU_DEP_2) | instskip(SKIP_3) | instid1(VALU_DEP_2)
	v_sub_co_ci_u32_e32 v4, vcc_lo, v6, v4, vcc_lo
	s_and_b32 vcc_lo, exec_lo, s2
	s_wait_kmcnt 0x0
	v_mul_lo_u32 v6, s21, v5
	v_mul_lo_u32 v4, s20, v4
	v_mad_co_u64_u32 v[1:2], null, s20, v5, v[1:2]
	s_delay_alu instid0(VALU_DEP_1)
	v_add3_u32 v2, v6, v2, v4
	s_wait_alu 0xfffe
	s_cbranch_vccnz .LBB0_9
; %bb.7:                                ;   in Loop: Header=BB0_2 Depth=1
	v_dual_mov_b32 v5, v7 :: v_dual_mov_b32 v6, v8
	s_branch .LBB0_2
.LBB0_8:
	v_dual_mov_b32 v8, v6 :: v_dual_mov_b32 v7, v5
.LBB0_9:
	s_lshl_b64 s[2:3], s[6:7], 3
	v_mul_hi_u32 v3, 0x1c71c72, v0
	s_wait_alu 0xfffe
	s_add_nc_u64 s[2:3], s[10:11], s[2:3]
	s_load_b64 s[2:3], s[2:3], 0x0
	s_load_b64 s[0:1], s[0:1], 0x20
	s_delay_alu instid0(VALU_DEP_1) | instskip(NEXT) | instid1(VALU_DEP_1)
	v_mul_u32_u24_e32 v3, 0x90, v3
	v_sub_nc_u32_e32 v36, v0, v3
	s_delay_alu instid0(VALU_DEP_1)
	v_add_nc_u32_e32 v41, 0x90, v36
	v_add_nc_u32_e32 v40, 0x120, v36
	s_wait_kmcnt 0x0
	v_mul_lo_u32 v4, s2, v8
	v_mul_lo_u32 v5, s3, v7
	v_mad_co_u64_u32 v[1:2], null, s2, v7, v[1:2]
	v_cmp_gt_u64_e32 vcc_lo, s[0:1], v[7:8]
	v_cmp_le_u64_e64 s0, s[0:1], v[7:8]
	s_delay_alu instid0(VALU_DEP_3) | instskip(NEXT) | instid1(VALU_DEP_2)
	v_add3_u32 v2, v5, v2, v4
	s_and_saveexec_b32 s1, s0
	s_wait_alu 0xfffe
	s_xor_b32 s0, exec_lo, s1
; %bb.10:
	v_add_nc_u32_e32 v41, 0x90, v36
	v_add_nc_u32_e32 v40, 0x120, v36
; %bb.11:
	s_wait_alu 0xfffe
	s_or_saveexec_b32 s1, s0
	v_lshlrev_b64_e32 v[38:39], 4, v[1:2]
	v_lshl_add_u32 v44, v36, 4, 0
	s_wait_alu 0xfffe
	s_xor_b32 exec_lo, exec_lo, s1
	s_cbranch_execz .LBB0_13
; %bb.12:
	v_mov_b32_e32 v37, 0
	v_add_co_u32 v2, s0, s8, v38
	s_wait_alu 0xf1ff
	v_add_co_ci_u32_e64 v3, s0, s9, v39, s0
	s_delay_alu instid0(VALU_DEP_3) | instskip(NEXT) | instid1(VALU_DEP_1)
	v_lshlrev_b64_e32 v[0:1], 4, v[36:37]
	v_add_co_u32 v28, s0, v2, v0
	s_wait_alu 0xf1ff
	s_delay_alu instid0(VALU_DEP_2)
	v_add_co_ci_u32_e64 v29, s0, v3, v1, s0
	s_clause 0x7
	global_load_b128 v[0:3], v[28:29], off
	global_load_b128 v[4:7], v[28:29], off offset:2304
	global_load_b128 v[8:11], v[28:29], off offset:4608
	;; [unrolled: 1-line block ×7, first 2 shown]
	s_wait_loadcnt 0x7
	ds_store_b128 v44, v[0:3]
	s_wait_loadcnt 0x6
	ds_store_b128 v44, v[4:7] offset:2304
	s_wait_loadcnt 0x5
	ds_store_b128 v44, v[8:11] offset:4608
	;; [unrolled: 2-line block ×7, first 2 shown]
.LBB0_13:
	s_or_b32 exec_lo, exec_lo, s1
	global_wb scope:SCOPE_SE
	s_wait_dscnt 0x0
	s_barrier_signal -1
	s_barrier_wait -1
	global_inv scope:SCOPE_SE
	ds_load_b128 v[0:3], v44 offset:9216
	ds_load_b128 v[4:7], v44
	ds_load_b128 v[8:11], v44 offset:4608
	ds_load_b128 v[12:15], v44 offset:13824
	;; [unrolled: 1-line block ×6, first 2 shown]
	v_lshl_add_u32 v37, v41, 6, 0
	global_wb scope:SCOPE_SE
	s_wait_dscnt 0x0
	s_barrier_signal -1
	s_barrier_wait -1
	global_inv scope:SCOPE_SE
	v_cmp_gt_u32_e64 s0, 0x60, v36
	v_add_f64_e64 v[32:33], v[4:5], -v[0:1]
	v_add_f64_e64 v[34:35], v[6:7], -v[2:3]
	;; [unrolled: 1-line block ×8, first 2 shown]
	v_fma_f64 v[30:31], v[4:5], 2.0, -v[32:33]
	v_fma_f64 v[42:43], v[6:7], 2.0, -v[34:35]
	;; [unrolled: 1-line block ×8, first 2 shown]
	v_add_f64_e64 v[10:11], v[34:35], -v[0:1]
	v_add_f64_e32 v[0:1], v[20:21], v[12:13]
	v_add_f64_e32 v[8:9], v[32:33], v[2:3]
	v_add_f64_e64 v[2:3], v[22:23], -v[28:29]
	v_add_f64_e64 v[12:13], v[30:31], -v[4:5]
	;; [unrolled: 1-line block ×5, first 2 shown]
	v_fma_f64 v[18:19], v[34:35], 2.0, -v[10:11]
	v_fma_f64 v[20:21], v[20:21], 2.0, -v[0:1]
	;; [unrolled: 1-line block ×4, first 2 shown]
	v_mad_u32_u24 v32, v36, 48, v44
	v_mad_i32_i24 v33, 0xffffffd0, v41, v37
                                        ; implicit-def: $vgpr34_vgpr35
	v_fma_f64 v[24:25], v[30:31], 2.0, -v[12:13]
	v_fma_f64 v[26:27], v[42:43], 2.0, -v[14:15]
	v_fma_f64 v[28:29], v[45:46], 2.0, -v[4:5]
	v_fma_f64 v[30:31], v[47:48], 2.0, -v[6:7]
	v_lshl_add_u32 v45, v40, 4, 0
	ds_store_b128 v32, v[12:15] offset:32
	ds_store_b128 v32, v[8:11] offset:48
	ds_store_b128 v32, v[24:27]
	ds_store_b128 v32, v[16:19] offset:16
	ds_store_b128 v37, v[28:31]
	ds_store_b128 v37, v[20:23] offset:16
	ds_store_b128 v37, v[4:7] offset:32
	;; [unrolled: 1-line block ×3, first 2 shown]
	global_wb scope:SCOPE_SE
	s_wait_dscnt 0x0
	s_barrier_signal -1
	s_barrier_wait -1
	global_inv scope:SCOPE_SE
	ds_load_b128 v[12:15], v44
	ds_load_b128 v[8:11], v33
	ds_load_b128 v[24:27], v44 offset:6144
	ds_load_b128 v[16:19], v44 offset:8448
	;; [unrolled: 1-line block ×4, first 2 shown]
	s_and_saveexec_b32 s1, s0
	s_cbranch_execz .LBB0_15
; %bb.14:
	ds_load_b128 v[4:7], v45
	ds_load_b128 v[0:3], v44 offset:10752
	ds_load_b128 v[32:35], v44 offset:16896
.LBB0_15:
	s_wait_alu 0xfffe
	s_or_b32 exec_lo, exec_lo, s1
	v_and_b32_e32 v42, 3, v36
	s_mov_b32 s6, 0xe8584caa
	s_mov_b32 s7, 0xbfebb67a
	;; [unrolled: 1-line block ×3, first 2 shown]
	s_wait_alu 0xfffe
	s_mov_b32 s2, s6
	v_lshlrev_b32_e32 v43, 5, v42
	s_clause 0x1
	global_load_b128 v[46:49], v43, s[4:5]
	global_load_b128 v[50:53], v43, s[4:5] offset:16
	global_wb scope:SCOPE_SE
	s_wait_loadcnt_dscnt 0x0
	s_barrier_signal -1
	s_barrier_wait -1
	global_inv scope:SCOPE_SE
	v_mul_f64_e32 v[54:55], v[26:27], v[48:49]
	v_mul_f64_e32 v[56:57], v[24:25], v[48:49]
	v_mul_f64_e32 v[58:59], v[30:31], v[52:53]
	v_mul_f64_e32 v[60:61], v[28:29], v[52:53]
	v_mul_f64_e32 v[62:63], v[18:19], v[48:49]
	v_mul_f64_e32 v[64:65], v[16:17], v[48:49]
	v_mul_f64_e32 v[66:67], v[22:23], v[52:53]
	v_mul_f64_e32 v[68:69], v[20:21], v[52:53]
	v_mul_f64_e32 v[70:71], v[2:3], v[48:49]
	v_mul_f64_e32 v[48:49], v[0:1], v[48:49]
	v_mul_f64_e32 v[72:73], v[34:35], v[52:53]
	v_mul_f64_e32 v[52:53], v[32:33], v[52:53]
	v_fma_f64 v[24:25], v[24:25], v[46:47], v[54:55]
	v_fma_f64 v[26:27], v[26:27], v[46:47], -v[56:57]
	v_fma_f64 v[28:29], v[28:29], v[50:51], v[58:59]
	v_fma_f64 v[30:31], v[30:31], v[50:51], -v[60:61]
	;; [unrolled: 2-line block ×6, first 2 shown]
	v_add_f64_e32 v[50:51], v[12:13], v[24:25]
	v_add_f64_e32 v[62:63], v[14:15], v[26:27]
	v_add_f64_e32 v[0:1], v[24:25], v[28:29]
	v_add_f64_e32 v[2:3], v[26:27], v[30:31]
	v_add_f64_e64 v[52:53], v[26:27], -v[30:31]
	v_add_f64_e64 v[64:65], v[24:25], -v[28:29]
	v_add_f64_e32 v[32:33], v[54:55], v[58:59]
	v_add_f64_e32 v[34:35], v[56:57], v[60:61]
	v_add_f64_e32 v[66:67], v[8:9], v[54:55]
	v_add_f64_e32 v[68:69], v[10:11], v[56:57]
	v_add_f64_e32 v[46:47], v[18:19], v[16:17]
	v_add_f64_e32 v[48:49], v[22:23], v[20:21]
	v_add_f64_e64 v[56:57], v[56:57], -v[60:61]
	v_add_f64_e64 v[70:71], v[54:55], -v[58:59]
	v_lshrrev_b32_e32 v24, 2, v41
	v_add_f64_e32 v[25:26], v[50:51], v[28:29]
	v_add_f64_e32 v[27:28], v[62:63], v[30:31]
	v_fma_f64 v[0:1], v[0:1], -0.5, v[12:13]
	v_fma_f64 v[2:3], v[2:3], -0.5, v[14:15]
	v_add_f64_e64 v[12:13], v[22:23], -v[20:21]
	v_add_f64_e64 v[14:15], v[18:19], -v[16:17]
	v_fma_f64 v[72:73], v[32:33], -0.5, v[8:9]
	v_fma_f64 v[33:34], v[34:35], -0.5, v[10:11]
	v_add_f64_e32 v[29:30], v[66:67], v[58:59]
	v_add_f64_e32 v[31:32], v[68:69], v[60:61]
	v_fma_f64 v[8:9], v[46:47], -0.5, v[4:5]
	v_fma_f64 v[10:11], v[48:49], -0.5, v[6:7]
	v_fma_f64 v[46:47], v[52:53], s[6:7], v[0:1]
	s_wait_alu 0xfffe
	v_fma_f64 v[50:51], v[52:53], s[2:3], v[0:1]
	v_fma_f64 v[48:49], v[64:65], s[2:3], v[2:3]
	;; [unrolled: 1-line block ×9, first 2 shown]
	v_lshrrev_b32_e32 v33, 2, v36
	v_mul_lo_u32 v34, v24, 12
	s_delay_alu instid0(VALU_DEP_2) | instskip(NEXT) | instid1(VALU_DEP_2)
	v_mul_u32_u24_e32 v24, 12, v33
	v_or_b32_e32 v34, v34, v42
	s_delay_alu instid0(VALU_DEP_2) | instskip(SKIP_1) | instid1(VALU_DEP_3)
	v_or_b32_e32 v33, v24, v42
	v_mul_i32_i24_e32 v24, 0xffffffd0, v41
	v_lshl_add_u32 v34, v34, 4, 0
	s_delay_alu instid0(VALU_DEP_3)
	v_lshl_add_u32 v33, v33, 4, 0
	ds_store_b128 v33, v[25:28]
	ds_store_b128 v33, v[46:49] offset:64
	ds_store_b128 v33, v[50:53] offset:128
	ds_store_b128 v34, v[29:32]
	ds_store_b128 v34, v[54:57] offset:64
	ds_store_b128 v34, v[58:61] offset:128
	s_and_saveexec_b32 s1, s0
	s_cbranch_execz .LBB0_17
; %bb.16:
	v_mul_f64_e32 v[14:15], s[2:3], v[14:15]
	v_add_f64_e32 v[22:23], v[6:7], v[22:23]
	v_add_f64_e32 v[4:5], v[4:5], v[18:19]
	v_mul_f64_e32 v[18:19], s[2:3], v[12:13]
	s_delay_alu instid0(VALU_DEP_4) | instskip(NEXT) | instid1(VALU_DEP_4)
	v_add_f64_e32 v[6:7], v[14:15], v[10:11]
	v_add_f64_e32 v[12:13], v[22:23], v[20:21]
	s_delay_alu instid0(VALU_DEP_4) | instskip(NEXT) | instid1(VALU_DEP_4)
	v_add_f64_e32 v[10:11], v[4:5], v[16:17]
	v_add_f64_e64 v[4:5], v[8:9], -v[18:19]
	v_lshrrev_b32_e32 v8, 2, v40
	s_delay_alu instid0(VALU_DEP_1) | instskip(NEXT) | instid1(VALU_DEP_1)
	v_mul_lo_u32 v8, v8, 12
	v_or_b32_e32 v8, v8, v42
	s_delay_alu instid0(VALU_DEP_1)
	v_lshl_add_u32 v8, v8, 4, 0
	ds_store_b128 v8, v[10:13]
	ds_store_b128 v8, v[4:7] offset:64
	ds_store_b128 v8, v[0:3] offset:128
.LBB0_17:
	s_wait_alu 0xfffe
	s_or_b32 exec_lo, exec_lo, s1
	v_and_b32_e32 v4, 0xff, v36
	global_wb scope:SCOPE_SE
	s_wait_dscnt 0x0
	s_barrier_signal -1
	s_barrier_wait -1
	global_inv scope:SCOPE_SE
	v_mul_lo_u16 v4, 0xab, v4
	v_add_nc_u32_e32 v46, v37, v24
	s_mov_b32 s2, 0x667f3bcd
	s_mov_b32 s3, 0xbfe6a09e
	;; [unrolled: 1-line block ×3, first 2 shown]
	v_lshrrev_b16 v85, 11, v4
	s_wait_alu 0xfffe
	s_mov_b32 s6, s2
	s_delay_alu instid0(VALU_DEP_1) | instskip(SKIP_1) | instid1(VALU_DEP_2)
	v_mul_lo_u16 v4, v85, 12
	v_and_b32_e32 v37, 0xffff, v85
	v_sub_nc_u16 v4, v36, v4
	s_delay_alu instid0(VALU_DEP_2) | instskip(NEXT) | instid1(VALU_DEP_2)
	v_mul_u32_u24_e32 v37, 0x60, v37
	v_and_b32_e32 v86, 0xff, v4
	s_delay_alu instid0(VALU_DEP_1) | instskip(NEXT) | instid1(VALU_DEP_3)
	v_mul_u32_u24_e32 v4, 7, v86
	v_or_b32_e32 v37, v37, v86
	s_delay_alu instid0(VALU_DEP_2) | instskip(NEXT) | instid1(VALU_DEP_2)
	v_lshlrev_b32_e32 v29, 4, v4
	v_lshl_add_u32 v37, v37, 4, 0
	s_clause 0x6
	global_load_b128 v[4:7], v29, s[4:5] offset:128
	global_load_b128 v[8:11], v29, s[4:5] offset:144
	;; [unrolled: 1-line block ×7, first 2 shown]
	ds_load_b128 v[47:50], v46
	ds_load_b128 v[51:54], v45
	ds_load_b128 v[55:58], v44 offset:9216
	ds_load_b128 v[59:62], v44 offset:13824
	ds_load_b128 v[63:66], v44 offset:11520
	ds_load_b128 v[67:70], v44 offset:6912
	ds_load_b128 v[71:74], v44 offset:16128
	s_wait_loadcnt_dscnt 0x606
	v_mul_f64_e32 v[33:34], v[49:50], v[6:7]
	v_mul_f64_e32 v[6:7], v[47:48], v[6:7]
	s_wait_loadcnt_dscnt 0x505
	v_mul_f64_e32 v[42:43], v[53:54], v[10:11]
	v_mul_f64_e32 v[10:11], v[51:52], v[10:11]
	;; [unrolled: 3-line block ×7, first 2 shown]
	v_fma_f64 v[33:34], v[47:48], v[4:5], v[33:34]
	v_fma_f64 v[47:48], v[49:50], v[4:5], -v[6:7]
	v_fma_f64 v[42:43], v[51:52], v[8:9], v[42:43]
	v_fma_f64 v[8:9], v[53:54], v[8:9], -v[10:11]
	;; [unrolled: 2-line block ×7, first 2 shown]
	ds_load_b128 v[4:7], v44
	global_wb scope:SCOPE_SE
	s_wait_dscnt 0x0
	s_barrier_signal -1
	s_barrier_wait -1
	global_inv scope:SCOPE_SE
	v_add_f64_e64 v[10:11], v[4:5], -v[10:11]
	v_add_f64_e64 v[12:13], v[6:7], -v[12:13]
	;; [unrolled: 1-line block ×8, first 2 shown]
	v_fma_f64 v[4:5], v[4:5], 2.0, -v[10:11]
	v_fma_f64 v[6:7], v[6:7], 2.0, -v[12:13]
	;; [unrolled: 1-line block ×6, first 2 shown]
	v_add_f64_e32 v[42:43], v[10:11], v[16:17]
	v_add_f64_e64 v[47:48], v[12:13], -v[14:15]
	v_fma_f64 v[14:15], v[22:23], 2.0, -v[26:27]
	v_fma_f64 v[16:17], v[24:25], 2.0, -v[28:29]
	v_add_f64_e32 v[22:23], v[18:19], v[28:29]
	v_add_f64_e64 v[24:25], v[20:21], -v[26:27]
	v_add_f64_e64 v[26:27], v[4:5], -v[30:31]
	;; [unrolled: 1-line block ×3, first 2 shown]
	v_fma_f64 v[49:50], v[10:11], 2.0, -v[42:43]
	v_fma_f64 v[51:52], v[12:13], 2.0, -v[47:48]
	v_add_f64_e64 v[8:9], v[32:33], -v[14:15]
	v_add_f64_e64 v[10:11], v[34:35], -v[16:17]
	v_fma_f64 v[18:19], v[18:19], 2.0, -v[22:23]
	v_fma_f64 v[16:17], v[20:21], 2.0, -v[24:25]
	s_wait_alu 0xfffe
	v_fma_f64 v[12:13], v[22:23], s[6:7], v[42:43]
	v_fma_f64 v[14:15], v[24:25], s[6:7], v[47:48]
	v_fma_f64 v[30:31], v[4:5], 2.0, -v[26:27]
	v_fma_f64 v[53:54], v[6:7], 2.0, -v[28:29]
	;; [unrolled: 1-line block ×4, first 2 shown]
	v_fma_f64 v[34:35], v[18:19], s[2:3], v[49:50]
	v_fma_f64 v[55:56], v[16:17], s[2:3], v[51:52]
	v_add_f64_e32 v[4:5], v[26:27], v[10:11]
	v_add_f64_e64 v[6:7], v[28:29], -v[8:9]
	v_fma_f64 v[8:9], v[24:25], s[6:7], v[12:13]
	v_fma_f64 v[10:11], v[22:23], s[2:3], v[14:15]
	v_add_f64_e64 v[12:13], v[30:31], -v[20:21]
	v_add_f64_e64 v[14:15], v[53:54], -v[32:33]
	v_fma_f64 v[16:17], v[16:17], s[6:7], v[34:35]
	v_fma_f64 v[18:19], v[18:19], s[2:3], v[55:56]
	v_fma_f64 v[20:21], v[26:27], 2.0, -v[4:5]
	v_fma_f64 v[22:23], v[28:29], 2.0, -v[6:7]
	;; [unrolled: 1-line block ×8, first 2 shown]
	ds_store_b128 v37, v[4:7] offset:1152
	ds_store_b128 v37, v[8:11] offset:1344
	;; [unrolled: 1-line block ×6, first 2 shown]
	ds_store_b128 v37, v[28:31]
	ds_store_b128 v37, v[32:35] offset:192
	global_wb scope:SCOPE_SE
	s_wait_dscnt 0x0
	s_barrier_signal -1
	s_barrier_wait -1
	global_inv scope:SCOPE_SE
	ds_load_b128 v[16:19], v44
	ds_load_b128 v[12:15], v46
	ds_load_b128 v[28:31], v44 offset:6144
	ds_load_b128 v[20:23], v44 offset:8448
	;; [unrolled: 1-line block ×4, first 2 shown]
	s_and_saveexec_b32 s1, s0
	s_cbranch_execz .LBB0_19
; %bb.18:
	ds_load_b128 v[4:7], v45
	ds_load_b128 v[8:11], v44 offset:10752
	ds_load_b128 v[0:3], v44 offset:16896
.LBB0_19:
	s_wait_alu 0xfffe
	s_or_b32 exec_lo, exec_lo, s1
	v_and_b32_e32 v37, 0xffff, v41
	v_dual_mov_b32 v43, 0 :: v_dual_add_nc_u32 v42, 0xffffffa0, v36
	s_mov_b32 s2, 0xe8584caa
	s_mov_b32 s3, 0xbfebb67a
	s_delay_alu instid0(VALU_DEP_2) | instskip(NEXT) | instid1(VALU_DEP_2)
	v_mul_u32_u24_e32 v37, 0xaaab, v37
	v_cndmask_b32_e64 v71, v42, v36, s0
	s_mov_b32 s7, 0x3febb67a
	s_wait_alu 0xfffe
	s_mov_b32 s6, s2
	v_lshrrev_b32_e32 v37, 22, v37
	v_lshlrev_b32_e32 v42, 1, v71
	s_delay_alu instid0(VALU_DEP_2) | instskip(SKIP_1) | instid1(VALU_DEP_2)
	v_mul_lo_u16 v47, 0x60, v37
	v_mul_u32_u24_e32 v37, 0x1200, v37
	v_sub_nc_u16 v49, v41, v47
	s_delay_alu instid0(VALU_DEP_4) | instskip(NEXT) | instid1(VALU_DEP_2)
	v_lshlrev_b64_e32 v[47:48], 4, v[42:43]
	v_and_b32_e32 v42, 0xffff, v49
	s_delay_alu instid0(VALU_DEP_2) | instskip(SKIP_1) | instid1(VALU_DEP_3)
	v_add_co_u32 v51, s1, s4, v47
	s_wait_alu 0xf1ff
	v_add_co_ci_u32_e64 v52, s1, s5, v48, s1
	s_delay_alu instid0(VALU_DEP_3)
	v_lshlrev_b32_e32 v59, 5, v42
	v_cmp_lt_u32_e64 s1, 0x5f, v36
	s_clause 0x3
	global_load_b128 v[47:50], v[51:52], off offset:1472
	global_load_b128 v[51:54], v[51:52], off offset:1488
	global_load_b128 v[55:58], v59, s[4:5] offset:1472
	global_load_b128 v[59:62], v59, s[4:5] offset:1488
	v_lshlrev_b32_e32 v42, 4, v42
	global_wb scope:SCOPE_SE
	s_wait_loadcnt_dscnt 0x0
	s_barrier_signal -1
	s_barrier_wait -1
	global_inv scope:SCOPE_SE
	v_add3_u32 v37, 0, v37, v42
	v_mul_f64_e32 v[63:64], v[30:31], v[49:50]
	v_mul_f64_e32 v[65:66], v[34:35], v[53:54]
	;; [unrolled: 1-line block ×8, first 2 shown]
	v_fma_f64 v[28:29], v[28:29], v[47:48], v[63:64]
	v_fma_f64 v[32:33], v[32:33], v[51:52], v[65:66]
	v_fma_f64 v[30:31], v[30:31], v[47:48], -v[49:50]
	v_fma_f64 v[34:35], v[34:35], v[51:52], -v[53:54]
	v_fma_f64 v[20:21], v[20:21], v[55:56], v[67:68]
	v_fma_f64 v[24:25], v[24:25], v[59:60], v[69:70]
	v_fma_f64 v[22:23], v[22:23], v[55:56], -v[57:58]
	v_fma_f64 v[26:27], v[26:27], v[59:60], -v[61:62]
	v_add_f64_e32 v[55:56], v[16:17], v[28:29]
	v_add_f64_e32 v[47:48], v[28:29], v[32:33]
	v_add_f64_e64 v[28:29], v[28:29], -v[32:33]
	v_add_f64_e32 v[49:50], v[30:31], v[34:35]
	v_add_f64_e64 v[57:58], v[30:31], -v[34:35]
	v_add_f64_e32 v[51:52], v[20:21], v[24:25]
	v_add_f64_e32 v[30:31], v[18:19], v[30:31]
	;; [unrolled: 1-line block ×5, first 2 shown]
	v_add_f64_e64 v[63:64], v[22:23], -v[26:27]
	v_add_f64_e64 v[65:66], v[20:21], -v[24:25]
	v_fma_f64 v[47:48], v[47:48], -0.5, v[16:17]
	v_fma_f64 v[49:50], v[49:50], -0.5, v[18:19]
	;; [unrolled: 1-line block ×3, first 2 shown]
	v_add_f64_e32 v[12:13], v[55:56], v[32:33]
	v_fma_f64 v[53:54], v[53:54], -0.5, v[14:15]
	v_add_f64_e32 v[14:15], v[30:31], v[34:35]
	v_add_f64_e32 v[16:17], v[59:60], v[24:25]
	;; [unrolled: 1-line block ×3, first 2 shown]
	v_fma_f64 v[20:21], v[57:58], s[2:3], v[47:48]
	s_wait_alu 0xfffe
	v_fma_f64 v[24:25], v[57:58], s[6:7], v[47:48]
	v_fma_f64 v[22:23], v[28:29], s[6:7], v[49:50]
	;; [unrolled: 1-line block ×7, first 2 shown]
	s_wait_alu 0xf1ff
	v_cndmask_b32_e64 v47, 0, 0x1200, s1
	v_lshlrev_b32_e32 v48, 4, v71
	s_delay_alu instid0(VALU_DEP_1)
	v_add3_u32 v47, 0, v47, v48
	ds_store_b128 v47, v[12:15]
	ds_store_b128 v47, v[20:23] offset:1536
	ds_store_b128 v47, v[24:27] offset:3072
	ds_store_b128 v37, v[16:19]
	ds_store_b128 v37, v[28:31] offset:1536
	ds_store_b128 v37, v[32:35] offset:3072
	s_and_saveexec_b32 s1, s0
	s_cbranch_execz .LBB0_21
; %bb.20:
	v_and_b32_e32 v12, 0xffff, v40
	s_delay_alu instid0(VALU_DEP_1) | instskip(NEXT) | instid1(VALU_DEP_1)
	v_mul_u32_u24_e32 v12, 0xaaab, v12
	v_lshrrev_b32_e32 v12, 22, v12
	s_delay_alu instid0(VALU_DEP_1) | instskip(NEXT) | instid1(VALU_DEP_1)
	v_mul_lo_u16 v12, 0x60, v12
	v_sub_nc_u16 v12, v40, v12
	s_delay_alu instid0(VALU_DEP_1) | instskip(NEXT) | instid1(VALU_DEP_1)
	v_and_b32_e32 v24, 0xffff, v12
	v_lshlrev_b32_e32 v16, 5, v24
	s_clause 0x1
	global_load_b128 v[12:15], v16, s[4:5] offset:1472
	global_load_b128 v[16:19], v16, s[4:5] offset:1488
	s_wait_loadcnt 0x1
	v_mul_f64_e32 v[20:21], v[8:9], v[14:15]
	s_wait_loadcnt 0x0
	v_mul_f64_e32 v[22:23], v[0:1], v[18:19]
	v_mul_f64_e32 v[14:15], v[10:11], v[14:15]
	v_mul_f64_e32 v[18:19], v[2:3], v[18:19]
	s_delay_alu instid0(VALU_DEP_4) | instskip(NEXT) | instid1(VALU_DEP_4)
	v_fma_f64 v[10:11], v[10:11], v[12:13], -v[20:21]
	v_fma_f64 v[2:3], v[2:3], v[16:17], -v[22:23]
	s_delay_alu instid0(VALU_DEP_4) | instskip(NEXT) | instid1(VALU_DEP_4)
	v_fma_f64 v[8:9], v[8:9], v[12:13], v[14:15]
	v_fma_f64 v[0:1], v[0:1], v[16:17], v[18:19]
	s_delay_alu instid0(VALU_DEP_4) | instskip(NEXT) | instid1(VALU_DEP_4)
	v_add_f64_e32 v[18:19], v[6:7], v[10:11]
	v_add_f64_e32 v[12:13], v[10:11], v[2:3]
	v_add_f64_e64 v[20:21], v[10:11], -v[2:3]
	s_delay_alu instid0(VALU_DEP_4)
	v_add_f64_e32 v[14:15], v[8:9], v[0:1]
	v_add_f64_e64 v[16:17], v[8:9], -v[0:1]
	v_add_f64_e32 v[8:9], v[4:5], v[8:9]
	v_add_f64_e32 v[2:3], v[18:19], v[2:3]
	v_fma_f64 v[12:13], v[12:13], -0.5, v[6:7]
	v_fma_f64 v[4:5], v[14:15], -0.5, v[4:5]
	s_delay_alu instid0(VALU_DEP_4) | instskip(NEXT) | instid1(VALU_DEP_3)
	v_add_f64_e32 v[0:1], v[8:9], v[0:1]
	v_fma_f64 v[10:11], v[16:17], s[6:7], v[12:13]
	v_fma_f64 v[6:7], v[16:17], s[2:3], v[12:13]
	s_delay_alu instid0(VALU_DEP_4)
	v_fma_f64 v[8:9], v[20:21], s[2:3], v[4:5]
	v_fma_f64 v[4:5], v[20:21], s[6:7], v[4:5]
	v_lshl_add_u32 v12, v24, 4, 0
	ds_store_b128 v12, v[0:3] offset:13824
	ds_store_b128 v12, v[8:11] offset:15360
	;; [unrolled: 1-line block ×3, first 2 shown]
.LBB0_21:
	s_wait_alu 0xfffe
	s_or_b32 exec_lo, exec_lo, s1
	v_mul_i32_i24_e32 v42, 3, v41
	v_mul_u32_u24_e32 v0, 3, v36
	global_wb scope:SCOPE_SE
	s_wait_dscnt 0x0
	s_barrier_signal -1
	s_barrier_wait -1
	v_lshlrev_b64_e32 v[4:5], 4, v[42:43]
	v_lshlrev_b32_e32 v8, 4, v0
	global_inv scope:SCOPE_SE
	s_mov_b32 s1, exec_lo
	global_load_b128 v[0:3], v8, s[4:5] offset:4544
	v_add_co_u32 v20, s0, s4, v4
	s_wait_alu 0xf1ff
	v_add_co_ci_u32_e64 v21, s0, s5, v5, s0
	s_clause 0x4
	global_load_b128 v[4:7], v8, s[4:5] offset:4560
	global_load_b128 v[8:11], v8, s[4:5] offset:4576
	global_load_b128 v[12:15], v[20:21], off offset:4544
	global_load_b128 v[16:19], v[20:21], off offset:4560
	global_load_b128 v[20:23], v[20:21], off offset:4576
	ds_load_b128 v[24:27], v45
	ds_load_b128 v[28:31], v44 offset:9216
	ds_load_b128 v[32:35], v44 offset:13824
	;; [unrolled: 1-line block ×5, first 2 shown]
	s_wait_loadcnt_dscnt 0x505
	v_mul_f64_e32 v[42:43], v[26:27], v[2:3]
	v_mul_f64_e32 v[2:3], v[24:25], v[2:3]
	s_wait_loadcnt_dscnt 0x404
	v_mul_f64_e32 v[59:60], v[30:31], v[6:7]
	v_mul_f64_e32 v[6:7], v[28:29], v[6:7]
	;; [unrolled: 3-line block ×6, first 2 shown]
	v_fma_f64 v[24:25], v[24:25], v[0:1], v[42:43]
	v_fma_f64 v[26:27], v[26:27], v[0:1], -v[2:3]
	v_fma_f64 v[28:29], v[28:29], v[4:5], v[59:60]
	v_fma_f64 v[30:31], v[30:31], v[4:5], -v[6:7]
	;; [unrolled: 2-line block ×6, first 2 shown]
	ds_load_b128 v[0:3], v44
	ds_load_b128 v[4:7], v46
	global_wb scope:SCOPE_SE
	s_wait_dscnt 0x0
	s_barrier_signal -1
	s_barrier_wait -1
	global_inv scope:SCOPE_SE
	v_add_f64_e64 v[22:23], v[0:1], -v[28:29]
	v_add_f64_e64 v[28:29], v[2:3], -v[30:31]
	;; [unrolled: 1-line block ×8, first 2 shown]
	v_fma_f64 v[18:19], v[0:1], 2.0, -v[22:23]
	v_fma_f64 v[42:43], v[2:3], 2.0, -v[28:29]
	;; [unrolled: 1-line block ×4, first 2 shown]
	v_add_f64_e32 v[0:1], v[22:23], v[8:9]
	v_fma_f64 v[26:27], v[4:5], 2.0, -v[32:33]
	v_fma_f64 v[47:48], v[6:7], 2.0, -v[34:35]
	v_fma_f64 v[10:11], v[10:11], 2.0, -v[16:17]
	v_fma_f64 v[24:25], v[12:13], 2.0, -v[14:15]
	v_add_f64_e32 v[8:9], v[32:33], v[14:15]
	v_add_f64_e64 v[4:5], v[18:19], -v[2:3]
	v_add_f64_e64 v[6:7], v[42:43], -v[20:21]
	;; [unrolled: 1-line block ×6, first 2 shown]
	v_fma_f64 v[16:17], v[22:23], 2.0, -v[0:1]
	v_fma_f64 v[24:25], v[32:33], 2.0, -v[8:9]
	;; [unrolled: 1-line block ×8, first 2 shown]
	ds_store_b128 v44, v[4:7] offset:9216
	ds_store_b128 v44, v[0:3] offset:13824
	ds_store_b128 v44, v[20:23]
	ds_store_b128 v44, v[16:19] offset:4608
	ds_store_b128 v46, v[12:15] offset:9216
	;; [unrolled: 1-line block ×3, first 2 shown]
	ds_store_b128 v46, v[28:31]
	ds_store_b128 v46, v[24:27] offset:4608
	global_wb scope:SCOPE_SE
	s_wait_dscnt 0x0
	s_barrier_signal -1
	s_barrier_wait -1
	global_inv scope:SCOPE_SE
	ds_load_b128 v[0:3], v44
	v_lshlrev_b32_e32 v4, 4, v36
                                        ; implicit-def: $vgpr8_vgpr9
                                        ; implicit-def: $vgpr6_vgpr7
	s_delay_alu instid0(VALU_DEP_1)
	v_sub_nc_u32_e32 v10, 0, v4
                                        ; implicit-def: $vgpr4_vgpr5
	v_cmpx_ne_u32_e32 0, v36
	s_wait_alu 0xfffe
	s_xor_b32 s1, exec_lo, s1
	s_cbranch_execz .LBB0_23
; %bb.22:
	v_mov_b32_e32 v37, 0
	ds_load_b128 v[11:14], v10 offset:18432
	v_lshlrev_b64_e32 v[4:5], 4, v[36:37]
	s_delay_alu instid0(VALU_DEP_1) | instskip(SKIP_1) | instid1(VALU_DEP_2)
	v_add_co_u32 v4, s0, s4, v4
	s_wait_alu 0xf1ff
	v_add_co_ci_u32_e64 v5, s0, s5, v5, s0
	global_load_b128 v[4:7], v[4:5], off offset:18368
	s_wait_dscnt 0x0
	v_add_f64_e64 v[8:9], v[0:1], -v[11:12]
	v_add_f64_e32 v[15:16], v[2:3], v[13:14]
	v_add_f64_e64 v[2:3], v[2:3], -v[13:14]
	v_add_f64_e32 v[0:1], v[0:1], v[11:12]
	s_delay_alu instid0(VALU_DEP_4) | instskip(NEXT) | instid1(VALU_DEP_4)
	v_mul_f64_e32 v[8:9], 0.5, v[8:9]
	v_mul_f64_e32 v[13:14], 0.5, v[15:16]
	s_delay_alu instid0(VALU_DEP_4) | instskip(SKIP_1) | instid1(VALU_DEP_3)
	v_mul_f64_e32 v[2:3], 0.5, v[2:3]
	s_wait_loadcnt 0x0
	v_mul_f64_e32 v[11:12], v[8:9], v[6:7]
	s_delay_alu instid0(VALU_DEP_2) | instskip(SKIP_1) | instid1(VALU_DEP_3)
	v_fma_f64 v[15:16], v[13:14], v[6:7], v[2:3]
	v_fma_f64 v[2:3], v[13:14], v[6:7], -v[2:3]
	v_fma_f64 v[6:7], v[0:1], 0.5, v[11:12]
	v_fma_f64 v[0:1], v[0:1], 0.5, -v[11:12]
	s_delay_alu instid0(VALU_DEP_4) | instskip(NEXT) | instid1(VALU_DEP_4)
	v_fma_f64 v[11:12], -v[4:5], v[8:9], v[15:16]
	v_fma_f64 v[2:3], -v[4:5], v[8:9], v[2:3]
	ds_store_b64 v44, v[11:12] offset:8
	ds_store_b64 v10, v[2:3] offset:18440
	v_fma_f64 v[6:7], v[13:14], v[4:5], v[6:7]
	v_fma_f64 v[8:9], -v[13:14], v[4:5], v[0:1]
	v_dual_mov_b32 v4, v36 :: v_dual_mov_b32 v5, v37
                                        ; implicit-def: $vgpr0_vgpr1
.LBB0_23:
	s_wait_alu 0xfffe
	s_and_not1_saveexec_b32 s0, s1
	s_cbranch_execz .LBB0_25
; %bb.24:
	s_wait_dscnt 0x0
	v_add_f64_e32 v[6:7], v[0:1], v[2:3]
	v_add_f64_e64 v[8:9], v[0:1], -v[2:3]
	s_mov_b32 s2, 0
	v_mov_b32_e32 v2, 0
	s_wait_alu 0xfffe
	s_mov_b32 s3, s2
	s_wait_alu 0xfffe
	v_dual_mov_b32 v0, s2 :: v_dual_mov_b32 v1, s3
	v_mov_b32_e32 v4, 0
	v_mov_b32_e32 v5, 0
	ds_store_b64 v44, v[0:1] offset:8
	ds_store_b64 v10, v[0:1] offset:18440
	ds_load_b64 v[0:1], v2 offset:9224
	s_wait_dscnt 0x0
	v_xor_b32_e32 v1, 0x80000000, v1
	ds_store_b64 v2, v[0:1] offset:9224
.LBB0_25:
	s_wait_alu 0xfffe
	s_or_b32 exec_lo, exec_lo, s0
	v_mov_b32_e32 v42, 0
	s_wait_dscnt 0x0
	s_delay_alu instid0(VALU_DEP_1) | instskip(SKIP_1) | instid1(VALU_DEP_1)
	v_lshlrev_b64_e32 v[0:1], 4, v[41:42]
	v_mov_b32_e32 v41, v42
	v_lshlrev_b64_e32 v[11:12], 4, v[40:41]
	s_delay_alu instid0(VALU_DEP_3) | instskip(SKIP_1) | instid1(VALU_DEP_4)
	v_add_co_u32 v0, s0, s4, v0
	s_wait_alu 0xf1ff
	v_add_co_ci_u32_e64 v1, s0, s5, v1, s0
	s_delay_alu instid0(VALU_DEP_3)
	v_add_co_u32 v11, s0, s4, v11
	global_load_b128 v[0:3], v[0:1], off offset:18368
	s_wait_alu 0xf1ff
	v_add_co_ci_u32_e64 v12, s0, s5, v12, s0
	s_add_nc_u64 s[0:1], s[4:5], 0x47c0
	global_load_b128 v[11:14], v[11:12], off offset:18368
	ds_store_b64 v44, v[6:7]
	ds_store_b64 v10, v[8:9] offset:18432
	ds_load_b128 v[6:9], v46
	ds_load_b128 v[15:18], v10 offset:16128
	s_wait_dscnt 0x0
	v_add_f64_e64 v[19:20], v[6:7], -v[15:16]
	v_add_f64_e32 v[21:22], v[8:9], v[17:18]
	v_add_f64_e64 v[8:9], v[8:9], -v[17:18]
	v_add_f64_e32 v[6:7], v[6:7], v[15:16]
	s_delay_alu instid0(VALU_DEP_4) | instskip(NEXT) | instid1(VALU_DEP_4)
	v_mul_f64_e32 v[17:18], 0.5, v[19:20]
	v_mul_f64_e32 v[19:20], 0.5, v[21:22]
	s_delay_alu instid0(VALU_DEP_4) | instskip(SKIP_1) | instid1(VALU_DEP_3)
	v_mul_f64_e32 v[8:9], 0.5, v[8:9]
	s_wait_loadcnt 0x1
	v_mul_f64_e32 v[15:16], v[17:18], v[2:3]
	s_delay_alu instid0(VALU_DEP_2) | instskip(SKIP_1) | instid1(VALU_DEP_3)
	v_fma_f64 v[21:22], v[19:20], v[2:3], v[8:9]
	v_fma_f64 v[2:3], v[19:20], v[2:3], -v[8:9]
	v_fma_f64 v[8:9], v[6:7], 0.5, v[15:16]
	v_fma_f64 v[6:7], v[6:7], 0.5, -v[15:16]
	s_delay_alu instid0(VALU_DEP_4) | instskip(NEXT) | instid1(VALU_DEP_4)
	v_fma_f64 v[15:16], -v[0:1], v[17:18], v[21:22]
	v_fma_f64 v[17:18], -v[0:1], v[17:18], v[2:3]
	s_delay_alu instid0(VALU_DEP_4) | instskip(NEXT) | instid1(VALU_DEP_4)
	v_fma_f64 v[8:9], v[19:20], v[0:1], v[8:9]
	v_fma_f64 v[6:7], -v[19:20], v[0:1], v[6:7]
	v_lshlrev_b64_e32 v[0:1], 4, v[4:5]
	s_wait_alu 0xfffe
	s_delay_alu instid0(VALU_DEP_1) | instskip(SKIP_1) | instid1(VALU_DEP_2)
	v_add_co_u32 v2, s0, s0, v0
	s_wait_alu 0xf1ff
	v_add_co_ci_u32_e64 v3, s0, s1, v1, s0
	global_load_b128 v[2:5], v[2:3], off offset:6912
	ds_store_b64 v46, v[15:16] offset:8
	ds_store_b64 v10, v[17:18] offset:16136
	ds_store_b64 v46, v[8:9]
	ds_store_b64 v10, v[6:7] offset:16128
	ds_load_b128 v[6:9], v45
	ds_load_b128 v[15:18], v10 offset:13824
	s_wait_dscnt 0x0
	v_add_f64_e64 v[19:20], v[6:7], -v[15:16]
	v_add_f64_e32 v[21:22], v[8:9], v[17:18]
	v_add_f64_e64 v[8:9], v[8:9], -v[17:18]
	v_add_f64_e32 v[6:7], v[6:7], v[15:16]
	s_delay_alu instid0(VALU_DEP_4) | instskip(NEXT) | instid1(VALU_DEP_4)
	v_mul_f64_e32 v[17:18], 0.5, v[19:20]
	v_mul_f64_e32 v[19:20], 0.5, v[21:22]
	s_delay_alu instid0(VALU_DEP_4) | instskip(SKIP_1) | instid1(VALU_DEP_3)
	v_mul_f64_e32 v[8:9], 0.5, v[8:9]
	s_wait_loadcnt 0x1
	v_mul_f64_e32 v[15:16], v[17:18], v[13:14]
	s_delay_alu instid0(VALU_DEP_2) | instskip(SKIP_1) | instid1(VALU_DEP_3)
	v_fma_f64 v[21:22], v[19:20], v[13:14], v[8:9]
	v_fma_f64 v[8:9], v[19:20], v[13:14], -v[8:9]
	v_fma_f64 v[13:14], v[6:7], 0.5, v[15:16]
	v_fma_f64 v[6:7], v[6:7], 0.5, -v[15:16]
	s_delay_alu instid0(VALU_DEP_4) | instskip(NEXT) | instid1(VALU_DEP_4)
	v_fma_f64 v[15:16], -v[11:12], v[17:18], v[21:22]
	v_fma_f64 v[8:9], -v[11:12], v[17:18], v[8:9]
	s_delay_alu instid0(VALU_DEP_4) | instskip(NEXT) | instid1(VALU_DEP_4)
	v_fma_f64 v[13:14], v[19:20], v[11:12], v[13:14]
	v_fma_f64 v[6:7], -v[19:20], v[11:12], v[6:7]
	ds_store_2addr_b64 v45, v[13:14], v[15:16] offset1:1
	ds_store_b128 v10, v[6:9] offset:13824
	ds_load_b128 v[6:9], v44 offset:6912
	ds_load_b128 v[11:14], v10 offset:11520
	s_wait_dscnt 0x0
	v_add_f64_e64 v[15:16], v[6:7], -v[11:12]
	v_add_f64_e32 v[17:18], v[8:9], v[13:14]
	v_add_f64_e64 v[8:9], v[8:9], -v[13:14]
	v_add_f64_e32 v[6:7], v[6:7], v[11:12]
	s_delay_alu instid0(VALU_DEP_4) | instskip(NEXT) | instid1(VALU_DEP_4)
	v_mul_f64_e32 v[13:14], 0.5, v[15:16]
	v_mul_f64_e32 v[15:16], 0.5, v[17:18]
	s_delay_alu instid0(VALU_DEP_4) | instskip(SKIP_1) | instid1(VALU_DEP_3)
	v_mul_f64_e32 v[8:9], 0.5, v[8:9]
	s_wait_loadcnt 0x0
	v_mul_f64_e32 v[11:12], v[13:14], v[4:5]
	s_delay_alu instid0(VALU_DEP_2) | instskip(SKIP_1) | instid1(VALU_DEP_3)
	v_fma_f64 v[17:18], v[15:16], v[4:5], v[8:9]
	v_fma_f64 v[4:5], v[15:16], v[4:5], -v[8:9]
	v_fma_f64 v[8:9], v[6:7], 0.5, v[11:12]
	v_fma_f64 v[6:7], v[6:7], 0.5, -v[11:12]
	s_delay_alu instid0(VALU_DEP_4) | instskip(NEXT) | instid1(VALU_DEP_4)
	v_fma_f64 v[11:12], -v[2:3], v[13:14], v[17:18]
	v_fma_f64 v[4:5], -v[2:3], v[13:14], v[4:5]
	s_delay_alu instid0(VALU_DEP_4) | instskip(NEXT) | instid1(VALU_DEP_4)
	v_fma_f64 v[8:9], v[15:16], v[2:3], v[8:9]
	v_fma_f64 v[2:3], -v[15:16], v[2:3], v[6:7]
	v_add_nc_u32_e32 v6, 0x1800, v44
	ds_store_2addr_b64 v6, v[8:9], v[11:12] offset0:96 offset1:97
	ds_store_b128 v10, v[2:5] offset:11520
	global_wb scope:SCOPE_SE
	s_wait_dscnt 0x0
	s_barrier_signal -1
	s_barrier_wait -1
	global_inv scope:SCOPE_SE
	s_and_saveexec_b32 s0, vcc_lo
	s_cbranch_execz .LBB0_28
; %bb.26:
	ds_load_b128 v[4:7], v44
	ds_load_b128 v[8:11], v44 offset:2304
	ds_load_b128 v[12:15], v44 offset:4608
	;; [unrolled: 1-line block ×7, first 2 shown]
	v_add_co_u32 v2, vcc_lo, s8, v38
	s_wait_alu 0xfffd
	v_add_co_ci_u32_e32 v3, vcc_lo, s9, v39, vcc_lo
	s_delay_alu instid0(VALU_DEP_2) | instskip(SKIP_1) | instid1(VALU_DEP_2)
	v_add_co_u32 v0, vcc_lo, v2, v0
	s_wait_alu 0xfffd
	v_add_co_ci_u32_e32 v1, vcc_lo, v3, v1, vcc_lo
	v_cmp_eq_u32_e32 vcc_lo, 0x8f, v36
	s_wait_dscnt 0x7
	global_store_b128 v[0:1], v[4:7], off
	s_wait_dscnt 0x6
	global_store_b128 v[0:1], v[8:11], off offset:2304
	s_wait_dscnt 0x5
	global_store_b128 v[0:1], v[12:15], off offset:4608
	;; [unrolled: 2-line block ×7, first 2 shown]
	s_and_b32 exec_lo, exec_lo, vcc_lo
	s_cbranch_execz .LBB0_28
; %bb.27:
	v_mov_b32_e32 v0, 0
	ds_load_b128 v[4:7], v0 offset:18432
	s_wait_dscnt 0x0
	global_store_b128 v[2:3], v[4:7], off offset:18432
.LBB0_28:
	s_nop 0
	s_sendmsg sendmsg(MSG_DEALLOC_VGPRS)
	s_endpgm
	.section	.rodata,"a",@progbits
	.p2align	6, 0x0
	.amdhsa_kernel fft_rtc_back_len1152_factors_4_3_8_3_4_wgs_144_tpt_144_halfLds_dp_ip_CI_unitstride_sbrr_R2C_dirReg
		.amdhsa_group_segment_fixed_size 0
		.amdhsa_private_segment_fixed_size 0
		.amdhsa_kernarg_size 88
		.amdhsa_user_sgpr_count 2
		.amdhsa_user_sgpr_dispatch_ptr 0
		.amdhsa_user_sgpr_queue_ptr 0
		.amdhsa_user_sgpr_kernarg_segment_ptr 1
		.amdhsa_user_sgpr_dispatch_id 0
		.amdhsa_user_sgpr_private_segment_size 0
		.amdhsa_wavefront_size32 1
		.amdhsa_uses_dynamic_stack 0
		.amdhsa_enable_private_segment 0
		.amdhsa_system_sgpr_workgroup_id_x 1
		.amdhsa_system_sgpr_workgroup_id_y 0
		.amdhsa_system_sgpr_workgroup_id_z 0
		.amdhsa_system_sgpr_workgroup_info 0
		.amdhsa_system_vgpr_workitem_id 0
		.amdhsa_next_free_vgpr 87
		.amdhsa_next_free_sgpr 32
		.amdhsa_reserve_vcc 1
		.amdhsa_float_round_mode_32 0
		.amdhsa_float_round_mode_16_64 0
		.amdhsa_float_denorm_mode_32 3
		.amdhsa_float_denorm_mode_16_64 3
		.amdhsa_fp16_overflow 0
		.amdhsa_workgroup_processor_mode 1
		.amdhsa_memory_ordered 1
		.amdhsa_forward_progress 0
		.amdhsa_round_robin_scheduling 0
		.amdhsa_exception_fp_ieee_invalid_op 0
		.amdhsa_exception_fp_denorm_src 0
		.amdhsa_exception_fp_ieee_div_zero 0
		.amdhsa_exception_fp_ieee_overflow 0
		.amdhsa_exception_fp_ieee_underflow 0
		.amdhsa_exception_fp_ieee_inexact 0
		.amdhsa_exception_int_div_zero 0
	.end_amdhsa_kernel
	.text
.Lfunc_end0:
	.size	fft_rtc_back_len1152_factors_4_3_8_3_4_wgs_144_tpt_144_halfLds_dp_ip_CI_unitstride_sbrr_R2C_dirReg, .Lfunc_end0-fft_rtc_back_len1152_factors_4_3_8_3_4_wgs_144_tpt_144_halfLds_dp_ip_CI_unitstride_sbrr_R2C_dirReg
                                        ; -- End function
	.section	.AMDGPU.csdata,"",@progbits
; Kernel info:
; codeLenInByte = 7168
; NumSgprs: 34
; NumVgprs: 87
; ScratchSize: 0
; MemoryBound: 0
; FloatMode: 240
; IeeeMode: 1
; LDSByteSize: 0 bytes/workgroup (compile time only)
; SGPRBlocks: 4
; VGPRBlocks: 10
; NumSGPRsForWavesPerEU: 34
; NumVGPRsForWavesPerEU: 87
; Occupancy: 15
; WaveLimiterHint : 1
; COMPUTE_PGM_RSRC2:SCRATCH_EN: 0
; COMPUTE_PGM_RSRC2:USER_SGPR: 2
; COMPUTE_PGM_RSRC2:TRAP_HANDLER: 0
; COMPUTE_PGM_RSRC2:TGID_X_EN: 1
; COMPUTE_PGM_RSRC2:TGID_Y_EN: 0
; COMPUTE_PGM_RSRC2:TGID_Z_EN: 0
; COMPUTE_PGM_RSRC2:TIDIG_COMP_CNT: 0
	.text
	.p2alignl 7, 3214868480
	.fill 96, 4, 3214868480
	.type	__hip_cuid_cc50b2da54679c92,@object ; @__hip_cuid_cc50b2da54679c92
	.section	.bss,"aw",@nobits
	.globl	__hip_cuid_cc50b2da54679c92
__hip_cuid_cc50b2da54679c92:
	.byte	0                               ; 0x0
	.size	__hip_cuid_cc50b2da54679c92, 1

	.ident	"AMD clang version 19.0.0git (https://github.com/RadeonOpenCompute/llvm-project roc-6.4.0 25133 c7fe45cf4b819c5991fe208aaa96edf142730f1d)"
	.section	".note.GNU-stack","",@progbits
	.addrsig
	.addrsig_sym __hip_cuid_cc50b2da54679c92
	.amdgpu_metadata
---
amdhsa.kernels:
  - .args:
      - .actual_access:  read_only
        .address_space:  global
        .offset:         0
        .size:           8
        .value_kind:     global_buffer
      - .offset:         8
        .size:           8
        .value_kind:     by_value
      - .actual_access:  read_only
        .address_space:  global
        .offset:         16
        .size:           8
        .value_kind:     global_buffer
      - .actual_access:  read_only
        .address_space:  global
        .offset:         24
        .size:           8
        .value_kind:     global_buffer
      - .offset:         32
        .size:           8
        .value_kind:     by_value
      - .actual_access:  read_only
        .address_space:  global
        .offset:         40
        .size:           8
        .value_kind:     global_buffer
      - .actual_access:  read_only
        .address_space:  global
        .offset:         48
        .size:           8
        .value_kind:     global_buffer
      - .offset:         56
        .size:           4
        .value_kind:     by_value
      - .actual_access:  read_only
        .address_space:  global
        .offset:         64
        .size:           8
        .value_kind:     global_buffer
      - .actual_access:  read_only
        .address_space:  global
        .offset:         72
        .size:           8
        .value_kind:     global_buffer
      - .address_space:  global
        .offset:         80
        .size:           8
        .value_kind:     global_buffer
    .group_segment_fixed_size: 0
    .kernarg_segment_align: 8
    .kernarg_segment_size: 88
    .language:       OpenCL C
    .language_version:
      - 2
      - 0
    .max_flat_workgroup_size: 144
    .name:           fft_rtc_back_len1152_factors_4_3_8_3_4_wgs_144_tpt_144_halfLds_dp_ip_CI_unitstride_sbrr_R2C_dirReg
    .private_segment_fixed_size: 0
    .sgpr_count:     34
    .sgpr_spill_count: 0
    .symbol:         fft_rtc_back_len1152_factors_4_3_8_3_4_wgs_144_tpt_144_halfLds_dp_ip_CI_unitstride_sbrr_R2C_dirReg.kd
    .uniform_work_group_size: 1
    .uses_dynamic_stack: false
    .vgpr_count:     87
    .vgpr_spill_count: 0
    .wavefront_size: 32
    .workgroup_processor_mode: 1
amdhsa.target:   amdgcn-amd-amdhsa--gfx1201
amdhsa.version:
  - 1
  - 2
...

	.end_amdgpu_metadata
